;; amdgpu-corpus repo=ROCm/rocFFT kind=compiled arch=gfx1030 opt=O3
	.text
	.amdgcn_target "amdgcn-amd-amdhsa--gfx1030"
	.amdhsa_code_object_version 6
	.protected	fft_rtc_back_len176_factors_11_16_wgs_64_tpt_16_halfLds_sp_ip_CI_unitstride_sbrr_C2R_dirReg ; -- Begin function fft_rtc_back_len176_factors_11_16_wgs_64_tpt_16_halfLds_sp_ip_CI_unitstride_sbrr_C2R_dirReg
	.globl	fft_rtc_back_len176_factors_11_16_wgs_64_tpt_16_halfLds_sp_ip_CI_unitstride_sbrr_C2R_dirReg
	.p2align	8
	.type	fft_rtc_back_len176_factors_11_16_wgs_64_tpt_16_halfLds_sp_ip_CI_unitstride_sbrr_C2R_dirReg,@function
fft_rtc_back_len176_factors_11_16_wgs_64_tpt_16_halfLds_sp_ip_CI_unitstride_sbrr_C2R_dirReg: ; @fft_rtc_back_len176_factors_11_16_wgs_64_tpt_16_halfLds_sp_ip_CI_unitstride_sbrr_C2R_dirReg
; %bb.0:
	s_clause 0x2
	s_load_dwordx4 s[8:11], s[4:5], 0x0
	s_load_dwordx2 s[2:3], s[4:5], 0x50
	s_load_dwordx2 s[12:13], s[4:5], 0x18
	v_lshrrev_b32_e32 v9, 4, v0
	v_mov_b32_e32 v3, 0
	v_mov_b32_e32 v1, 0
	;; [unrolled: 1-line block ×3, first 2 shown]
	v_lshl_or_b32 v5, s6, 2, v9
	v_mov_b32_e32 v6, v3
	s_waitcnt lgkmcnt(0)
	v_cmp_lt_u64_e64 s0, s[10:11], 2
	s_and_b32 vcc_lo, exec_lo, s0
	s_cbranch_vccnz .LBB0_8
; %bb.1:
	s_load_dwordx2 s[0:1], s[4:5], 0x10
	v_mov_b32_e32 v1, 0
	s_add_u32 s6, s12, 8
	v_mov_b32_e32 v2, 0
	s_addc_u32 s7, s13, 0
	s_mov_b64 s[16:17], 1
	s_waitcnt lgkmcnt(0)
	s_add_u32 s14, s0, 8
	s_addc_u32 s15, s1, 0
.LBB0_2:                                ; =>This Inner Loop Header: Depth=1
	s_load_dwordx2 s[18:19], s[14:15], 0x0
                                        ; implicit-def: $vgpr7_vgpr8
	s_mov_b32 s0, exec_lo
	s_waitcnt lgkmcnt(0)
	v_or_b32_e32 v4, s19, v6
	v_cmpx_ne_u64_e32 0, v[3:4]
	s_xor_b32 s1, exec_lo, s0
	s_cbranch_execz .LBB0_4
; %bb.3:                                ;   in Loop: Header=BB0_2 Depth=1
	v_cvt_f32_u32_e32 v4, s18
	v_cvt_f32_u32_e32 v7, s19
	s_sub_u32 s0, 0, s18
	s_subb_u32 s20, 0, s19
	v_fmac_f32_e32 v4, 0x4f800000, v7
	v_rcp_f32_e32 v4, v4
	v_mul_f32_e32 v4, 0x5f7ffffc, v4
	v_mul_f32_e32 v7, 0x2f800000, v4
	v_trunc_f32_e32 v7, v7
	v_fmac_f32_e32 v4, 0xcf800000, v7
	v_cvt_u32_f32_e32 v7, v7
	v_cvt_u32_f32_e32 v4, v4
	v_mul_lo_u32 v8, s0, v7
	v_mul_hi_u32 v10, s0, v4
	v_mul_lo_u32 v11, s20, v4
	v_add_nc_u32_e32 v8, v10, v8
	v_mul_lo_u32 v10, s0, v4
	v_add_nc_u32_e32 v8, v8, v11
	v_mul_hi_u32 v11, v4, v10
	v_mul_lo_u32 v12, v4, v8
	v_mul_hi_u32 v13, v4, v8
	v_mul_hi_u32 v14, v7, v10
	v_mul_lo_u32 v10, v7, v10
	v_mul_hi_u32 v15, v7, v8
	v_mul_lo_u32 v8, v7, v8
	v_add_co_u32 v11, vcc_lo, v11, v12
	v_add_co_ci_u32_e32 v12, vcc_lo, 0, v13, vcc_lo
	v_add_co_u32 v10, vcc_lo, v11, v10
	v_add_co_ci_u32_e32 v10, vcc_lo, v12, v14, vcc_lo
	v_add_co_ci_u32_e32 v11, vcc_lo, 0, v15, vcc_lo
	v_add_co_u32 v8, vcc_lo, v10, v8
	v_add_co_ci_u32_e32 v10, vcc_lo, 0, v11, vcc_lo
	v_add_co_u32 v4, vcc_lo, v4, v8
	v_add_co_ci_u32_e32 v7, vcc_lo, v7, v10, vcc_lo
	v_mul_hi_u32 v8, s0, v4
	v_mul_lo_u32 v11, s20, v4
	v_mul_lo_u32 v10, s0, v7
	v_add_nc_u32_e32 v8, v8, v10
	v_mul_lo_u32 v10, s0, v4
	v_add_nc_u32_e32 v8, v8, v11
	v_mul_hi_u32 v11, v4, v10
	v_mul_lo_u32 v12, v4, v8
	v_mul_hi_u32 v13, v4, v8
	v_mul_hi_u32 v14, v7, v10
	v_mul_lo_u32 v10, v7, v10
	v_mul_hi_u32 v15, v7, v8
	v_mul_lo_u32 v8, v7, v8
	v_add_co_u32 v11, vcc_lo, v11, v12
	v_add_co_ci_u32_e32 v12, vcc_lo, 0, v13, vcc_lo
	v_add_co_u32 v10, vcc_lo, v11, v10
	v_add_co_ci_u32_e32 v10, vcc_lo, v12, v14, vcc_lo
	v_add_co_ci_u32_e32 v11, vcc_lo, 0, v15, vcc_lo
	v_add_co_u32 v8, vcc_lo, v10, v8
	v_add_co_ci_u32_e32 v10, vcc_lo, 0, v11, vcc_lo
	v_add_co_u32 v4, vcc_lo, v4, v8
	v_add_co_ci_u32_e32 v12, vcc_lo, v7, v10, vcc_lo
	v_mul_hi_u32 v14, v5, v4
	v_mad_u64_u32 v[10:11], null, v6, v4, 0
	v_mad_u64_u32 v[7:8], null, v5, v12, 0
	;; [unrolled: 1-line block ×3, first 2 shown]
	v_add_co_u32 v4, vcc_lo, v14, v7
	v_add_co_ci_u32_e32 v7, vcc_lo, 0, v8, vcc_lo
	v_add_co_u32 v4, vcc_lo, v4, v10
	v_add_co_ci_u32_e32 v4, vcc_lo, v7, v11, vcc_lo
	v_add_co_ci_u32_e32 v7, vcc_lo, 0, v13, vcc_lo
	v_add_co_u32 v4, vcc_lo, v4, v12
	v_add_co_ci_u32_e32 v10, vcc_lo, 0, v7, vcc_lo
	v_mul_lo_u32 v11, s19, v4
	v_mad_u64_u32 v[7:8], null, s18, v4, 0
	v_mul_lo_u32 v12, s18, v10
	v_sub_co_u32 v7, vcc_lo, v5, v7
	v_add3_u32 v8, v8, v12, v11
	v_sub_nc_u32_e32 v11, v6, v8
	v_subrev_co_ci_u32_e64 v11, s0, s19, v11, vcc_lo
	v_add_co_u32 v12, s0, v4, 2
	v_add_co_ci_u32_e64 v13, s0, 0, v10, s0
	v_sub_co_u32 v14, s0, v7, s18
	v_sub_co_ci_u32_e32 v8, vcc_lo, v6, v8, vcc_lo
	v_subrev_co_ci_u32_e64 v11, s0, 0, v11, s0
	v_cmp_le_u32_e32 vcc_lo, s18, v14
	v_cmp_eq_u32_e64 s0, s19, v8
	v_cndmask_b32_e64 v14, 0, -1, vcc_lo
	v_cmp_le_u32_e32 vcc_lo, s19, v11
	v_cndmask_b32_e64 v15, 0, -1, vcc_lo
	v_cmp_le_u32_e32 vcc_lo, s18, v7
	;; [unrolled: 2-line block ×3, first 2 shown]
	v_cndmask_b32_e64 v16, 0, -1, vcc_lo
	v_cmp_eq_u32_e32 vcc_lo, s19, v11
	v_cndmask_b32_e64 v7, v16, v7, s0
	v_cndmask_b32_e32 v11, v15, v14, vcc_lo
	v_add_co_u32 v14, vcc_lo, v4, 1
	v_add_co_ci_u32_e32 v15, vcc_lo, 0, v10, vcc_lo
	v_cmp_ne_u32_e32 vcc_lo, 0, v11
	v_cndmask_b32_e32 v8, v15, v13, vcc_lo
	v_cndmask_b32_e32 v11, v14, v12, vcc_lo
	v_cmp_ne_u32_e32 vcc_lo, 0, v7
	v_cndmask_b32_e32 v8, v10, v8, vcc_lo
	v_cndmask_b32_e32 v7, v4, v11, vcc_lo
.LBB0_4:                                ;   in Loop: Header=BB0_2 Depth=1
	s_andn2_saveexec_b32 s0, s1
	s_cbranch_execz .LBB0_6
; %bb.5:                                ;   in Loop: Header=BB0_2 Depth=1
	v_cvt_f32_u32_e32 v4, s18
	s_sub_i32 s1, 0, s18
	v_rcp_iflag_f32_e32 v4, v4
	v_mul_f32_e32 v4, 0x4f7ffffe, v4
	v_cvt_u32_f32_e32 v4, v4
	v_mul_lo_u32 v7, s1, v4
	v_mul_hi_u32 v7, v4, v7
	v_add_nc_u32_e32 v4, v4, v7
	v_mul_hi_u32 v4, v5, v4
	v_mul_lo_u32 v7, v4, s18
	v_add_nc_u32_e32 v8, 1, v4
	v_sub_nc_u32_e32 v7, v5, v7
	v_subrev_nc_u32_e32 v10, s18, v7
	v_cmp_le_u32_e32 vcc_lo, s18, v7
	v_cndmask_b32_e32 v7, v7, v10, vcc_lo
	v_cndmask_b32_e32 v4, v4, v8, vcc_lo
	v_cmp_le_u32_e32 vcc_lo, s18, v7
	v_add_nc_u32_e32 v8, 1, v4
	v_cndmask_b32_e32 v7, v4, v8, vcc_lo
	v_mov_b32_e32 v8, v3
.LBB0_6:                                ;   in Loop: Header=BB0_2 Depth=1
	s_or_b32 exec_lo, exec_lo, s0
	s_load_dwordx2 s[0:1], s[6:7], 0x0
	v_mul_lo_u32 v4, v8, s18
	v_mul_lo_u32 v12, v7, s19
	v_mad_u64_u32 v[10:11], null, v7, s18, 0
	s_add_u32 s16, s16, 1
	s_addc_u32 s17, s17, 0
	s_add_u32 s6, s6, 8
	s_addc_u32 s7, s7, 0
	;; [unrolled: 2-line block ×3, first 2 shown]
	v_add3_u32 v4, v11, v12, v4
	v_sub_co_u32 v5, vcc_lo, v5, v10
	v_sub_co_ci_u32_e32 v4, vcc_lo, v6, v4, vcc_lo
	s_waitcnt lgkmcnt(0)
	v_mul_lo_u32 v6, s1, v5
	v_mul_lo_u32 v4, s0, v4
	v_mad_u64_u32 v[1:2], null, s0, v5, v[1:2]
	v_cmp_ge_u64_e64 s0, s[16:17], s[10:11]
	s_and_b32 vcc_lo, exec_lo, s0
	v_add3_u32 v2, v6, v2, v4
	s_cbranch_vccnz .LBB0_9
; %bb.7:                                ;   in Loop: Header=BB0_2 Depth=1
	v_mov_b32_e32 v5, v7
	v_mov_b32_e32 v6, v8
	s_branch .LBB0_2
.LBB0_8:
	v_mov_b32_e32 v8, v6
	v_mov_b32_e32 v7, v5
.LBB0_9:
	s_lshl_b64 s[0:1], s[10:11], 3
	v_and_b32_e32 v12, 15, v0
	s_add_u32 s0, s12, s0
	s_addc_u32 s1, s13, s1
	s_load_dwordx2 s[0:1], s[0:1], 0x0
	s_load_dwordx2 s[4:5], s[4:5], 0x20
	s_waitcnt lgkmcnt(0)
	v_mul_lo_u32 v5, s0, v8
	v_mul_lo_u32 v6, s1, v7
	v_mad_u64_u32 v[3:4], null, s0, v7, v[1:2]
	v_mul_u32_u24_e32 v2, 0xb1, v9
	v_cmp_gt_u64_e32 vcc_lo, s[4:5], v[7:8]
	v_add3_u32 v4, v6, v4, v5
	v_lshlrev_b64 v[14:15], 3, v[3:4]
	v_lshlrev_b32_e32 v4, 3, v2
	s_and_saveexec_b32 s1, vcc_lo
	s_cbranch_execz .LBB0_13
; %bb.10:
	v_lshlrev_b32_e32 v3, 3, v12
	v_add_co_u32 v0, s0, s2, v14
	v_add_co_ci_u32_e64 v1, s0, s3, v15, s0
	s_mov_b32 s4, exec_lo
	v_add_co_u32 v5, s0, v0, v3
	v_add_co_ci_u32_e64 v6, s0, 0, v1, s0
	v_add3_u32 v3, 0, v4, v3
	s_clause 0xa
	global_load_dwordx2 v[7:8], v[5:6], off
	global_load_dwordx2 v[9:10], v[5:6], off offset:128
	global_load_dwordx2 v[16:17], v[5:6], off offset:256
	;; [unrolled: 1-line block ×10, first 2 shown]
	s_waitcnt vmcnt(9)
	ds_write2_b64 v3, v[7:8], v[9:10] offset1:16
	s_waitcnt vmcnt(7)
	ds_write2_b64 v3, v[16:17], v[18:19] offset0:32 offset1:48
	s_waitcnt vmcnt(5)
	ds_write2_b64 v3, v[20:21], v[22:23] offset0:64 offset1:80
	;; [unrolled: 2-line block ×4, first 2 shown]
	s_waitcnt vmcnt(0)
	ds_write_b64 v3, v[5:6] offset:1280
	v_cmpx_eq_u32_e32 15, v12
	s_cbranch_execz .LBB0_12
; %bb.11:
	global_load_dwordx2 v[0:1], v[0:1], off offset:1408
	v_mov_b32_e32 v12, 15
	s_waitcnt vmcnt(0)
	ds_write_b64 v3, v[0:1] offset:1288
.LBB0_12:
	s_or_b32 exec_lo, exec_lo, s4
.LBB0_13:
	s_or_b32 exec_lo, exec_lo, s1
	v_lshl_add_u32 v36, v2, 3, 0
	v_lshlrev_b32_e32 v5, 3, v12
	s_waitcnt lgkmcnt(0)
	s_barrier
	buffer_gl0_inv
	v_cmp_ne_u32_e64 s0, 0, v12
	v_add_nc_u32_e32 v37, v36, v5
	v_sub_nc_u32_e32 v6, v36, v5
                                        ; implicit-def: $vgpr0_vgpr1
	ds_read_b32 v7, v37
	ds_read_b32 v8, v6 offset:1408
	s_waitcnt lgkmcnt(0)
	v_add_f32_e32 v2, v8, v7
	v_sub_f32_e32 v3, v7, v8
	s_and_saveexec_b32 s1, s0
	s_xor_b32 s0, exec_lo, s1
	s_cbranch_execz .LBB0_15
; %bb.14:
	global_load_dwordx2 v[0:1], v5, s[8:9] offset:1320
	ds_read_b32 v2, v6 offset:1412
	ds_read_b32 v3, v37 offset:4
	v_add_f32_e32 v9, v8, v7
	v_sub_f32_e32 v10, v7, v8
	v_mov_b32_e32 v13, 0
	s_waitcnt lgkmcnt(0)
	v_add_f32_e32 v11, v2, v3
	v_sub_f32_e32 v2, v3, v2
	s_waitcnt vmcnt(0)
	v_fma_f32 v7, -v10, v1, v9
	v_fma_f32 v8, v11, v1, -v2
	v_fma_f32 v16, v10, v1, v9
	v_fma_f32 v3, v11, v1, v2
	v_fmac_f32_e32 v7, v0, v11
	v_fmac_f32_e32 v8, v10, v0
	v_fma_f32 v2, -v0, v11, v16
	v_fmac_f32_e32 v3, v10, v0
	v_mov_b32_e32 v0, v12
	v_mov_b32_e32 v1, v13
	ds_write_b64 v6, v[7:8] offset:1408
.LBB0_15:
	s_andn2_saveexec_b32 s0, s0
	s_cbranch_execz .LBB0_17
; %bb.16:
	ds_read_b64 v[0:1], v36 offset:704
	s_waitcnt lgkmcnt(0)
	v_add_f32_e32 v7, v0, v0
	v_mul_f32_e32 v8, -2.0, v1
	v_mov_b32_e32 v0, 0
	v_mov_b32_e32 v1, 0
	ds_write_b64 v36, v[7:8] offset:704
.LBB0_17:
	s_or_b32 exec_lo, exec_lo, s0
	v_lshlrev_b64 v[0:1], 3, v[0:1]
	s_add_u32 s0, s8, 0x528
	s_addc_u32 s1, s9, 0
	v_add_co_u32 v0, s0, s0, v0
	v_add_co_ci_u32_e64 v1, s0, s1, v1, s0
	s_mov_b32 s1, exec_lo
	s_clause 0x3
	global_load_dwordx2 v[7:8], v[0:1], off offset:128
	global_load_dwordx2 v[9:10], v[0:1], off offset:256
	;; [unrolled: 1-line block ×4, first 2 shown]
	ds_write_b64 v37, v[2:3]
	ds_read_b64 v[2:3], v37 offset:128
	ds_read_b64 v[20:21], v6 offset:1280
	s_waitcnt lgkmcnt(0)
	v_add_f32_e32 v11, v2, v20
	v_add_f32_e32 v13, v21, v3
	v_sub_f32_e32 v22, v2, v20
	v_sub_f32_e32 v2, v3, v21
	s_waitcnt vmcnt(3)
	v_fma_f32 v23, v22, v8, v11
	v_fma_f32 v3, v13, v8, v2
	v_fma_f32 v20, -v22, v8, v11
	v_fma_f32 v21, v13, v8, -v2
	v_fma_f32 v2, -v7, v13, v23
	v_fmac_f32_e32 v3, v22, v7
	v_fmac_f32_e32 v20, v7, v13
	v_fmac_f32_e32 v21, v22, v7
	ds_write_b64 v37, v[2:3] offset:128
	ds_write_b64 v6, v[20:21] offset:1280
	ds_read_b64 v[2:3], v37 offset:256
	ds_read_b64 v[7:8], v6 offset:1152
	s_waitcnt lgkmcnt(0)
	v_add_f32_e32 v11, v2, v7
	v_add_f32_e32 v13, v8, v3
	v_sub_f32_e32 v20, v2, v7
	v_sub_f32_e32 v2, v3, v8
	s_waitcnt vmcnt(2)
	v_fma_f32 v21, v20, v10, v11
	v_fma_f32 v3, v13, v10, v2
	v_fma_f32 v7, -v20, v10, v11
	v_fma_f32 v8, v13, v10, -v2
	v_fma_f32 v2, -v9, v13, v21
	v_fmac_f32_e32 v3, v20, v9
	v_fmac_f32_e32 v7, v9, v13
	v_fmac_f32_e32 v8, v20, v9
	ds_write_b64 v37, v[2:3] offset:256
	ds_write_b64 v6, v[7:8] offset:1152
	;; [unrolled: 18-line block ×3, first 2 shown]
	ds_read_b64 v[2:3], v37 offset:512
	ds_read_b64 v[7:8], v6 offset:896
	s_waitcnt lgkmcnt(0)
	v_add_f32_e32 v9, v2, v7
	v_add_f32_e32 v10, v8, v3
	v_sub_f32_e32 v11, v2, v7
	v_sub_f32_e32 v2, v3, v8
	s_waitcnt vmcnt(0)
	v_fma_f32 v13, v11, v19, v9
	v_fma_f32 v3, v10, v19, v2
	v_fma_f32 v7, -v11, v19, v9
	v_fma_f32 v8, v10, v19, -v2
	v_or_b32_e32 v9, 0x50, v12
	v_fma_f32 v2, -v18, v10, v13
	v_fmac_f32_e32 v3, v11, v18
	v_fmac_f32_e32 v7, v18, v10
	;; [unrolled: 1-line block ×3, first 2 shown]
	ds_write_b64 v37, v[2:3] offset:512
	ds_write_b64 v6, v[7:8] offset:896
	v_cmpx_gt_u32_e32 0x58, v9
	s_cbranch_execz .LBB0_19
; %bb.18:
	global_load_dwordx2 v[0:1], v[0:1], off offset:640
	ds_read_b64 v[2:3], v37 offset:640
	ds_read_b64 v[7:8], v6 offset:768
	s_waitcnt lgkmcnt(0)
	v_add_f32_e32 v9, v2, v7
	v_add_f32_e32 v10, v8, v3
	v_sub_f32_e32 v11, v2, v7
	v_sub_f32_e32 v3, v3, v8
	s_waitcnt vmcnt(0)
	v_fma_f32 v13, v11, v1, v9
	v_fma_f32 v2, v10, v1, v3
	v_fma_f32 v7, -v11, v1, v9
	v_fma_f32 v8, v10, v1, -v3
	v_fma_f32 v1, -v0, v10, v13
	v_fmac_f32_e32 v2, v11, v0
	v_fmac_f32_e32 v7, v0, v10
	;; [unrolled: 1-line block ×3, first 2 shown]
	ds_write_b64 v37, v[1:2] offset:640
	ds_write_b64 v6, v[7:8] offset:768
.LBB0_19:
	s_or_b32 exec_lo, exec_lo, s1
	v_add3_u32 v13, 0, v5, v4
	s_waitcnt lgkmcnt(0)
	s_barrier
	buffer_gl0_inv
	s_barrier
	buffer_gl0_inv
	ds_read_b64 v[26:27], v37
	ds_read2_b64 v[0:3], v13 offset0:16 offset1:32
	ds_read2_b64 v[4:7], v13 offset0:144 offset1:160
	;; [unrolled: 1-line block ×5, first 2 shown]
	v_cmp_gt_u32_e64 s0, 11, v12
	s_waitcnt lgkmcnt(0)
	s_barrier
	buffer_gl0_inv
	v_add_f32_e32 v16, v26, v0
	v_add_f32_e32 v17, v27, v1
	v_sub_f32_e32 v29, v1, v7
	v_add_f32_e32 v1, v7, v1
	v_add_f32_e32 v28, v6, v0
	v_add_f32_e32 v16, v16, v2
	v_add_f32_e32 v17, v17, v3
	v_sub_f32_e32 v0, v0, v6
	v_mul_f32_e32 v39, 0xbf27a4f4, v1
	v_mul_f32_e32 v38, 0xbf4178ce, v29
	v_add_f32_e32 v16, v16, v8
	v_add_f32_e32 v17, v17, v9
	v_mul_f32_e32 v30, 0xbf0a6770, v29
	v_fmamk_f32 v47, v0, 0x3f4178ce, v39
	v_mul_f32_e32 v32, 0xbf68dda4, v29
	v_add_f32_e32 v16, v16, v10
	v_add_f32_e32 v17, v17, v11
	v_mul_f32_e32 v34, 0xbf7d64f0, v29
	v_fmamk_f32 v46, v28, 0xbf27a4f4, v38
	v_mul_f32_e32 v31, 0x3f575c64, v1
	v_add_f32_e32 v16, v16, v18
	v_add_f32_e32 v17, v17, v19
	v_mul_f32_e32 v33, 0x3ed4b147, v1
	v_mul_f32_e32 v35, 0xbe11bafb, v1
	v_fmamk_f32 v40, v28, 0x3f575c64, v30
	v_add_f32_e32 v16, v16, v20
	v_add_f32_e32 v17, v17, v21
	v_mul_f32_e32 v1, 0xbf75a155, v1
	v_add_f32_e32 v49, v4, v2
	v_fmamk_f32 v41, v0, 0x3f0a6770, v31
	v_add_f32_e32 v16, v16, v22
	v_add_f32_e32 v17, v17, v23
	v_fma_f32 v30, 0x3f575c64, v28, -v30
	v_fmac_f32_e32 v31, 0xbf0a6770, v0
	v_fmamk_f32 v42, v28, 0x3ed4b147, v32
	v_add_f32_e32 v16, v16, v24
	v_add_f32_e32 v17, v17, v25
	v_fmamk_f32 v43, v0, 0x3f68dda4, v33
	v_fma_f32 v32, 0x3ed4b147, v28, -v32
	v_fmac_f32_e32 v33, 0xbf68dda4, v0
	v_add_f32_e32 v16, v16, v4
	v_add_f32_e32 v17, v17, v5
	v_fmamk_f32 v44, v28, 0xbe11bafb, v34
	v_fmamk_f32 v45, v0, 0x3f7d64f0, v35
	v_fma_f32 v34, 0xbe11bafb, v28, -v34
	v_add_f32_e32 v16, v16, v6
	v_mul_f32_e32 v6, 0xbe903f40, v29
	v_fma_f32 v29, 0xbf27a4f4, v28, -v38
	v_add_f32_e32 v38, v27, v47
	v_sub_f32_e32 v47, v3, v5
	v_add_f32_e32 v3, v5, v3
	v_fmac_f32_e32 v35, 0xbf7d64f0, v0
	v_add_f32_e32 v40, v26, v40
	v_add_f32_e32 v17, v17, v7
	v_mul_f32_e32 v50, 0xbf68dda4, v47
	v_add_f32_e32 v7, v26, v46
	v_fmac_f32_e32 v39, 0xbf4178ce, v0
	v_fmamk_f32 v46, v28, 0xbf75a155, v6
	v_fmamk_f32 v48, v0, 0x3e903f40, v1
	v_fma_f32 v5, 0xbf75a155, v28, -v6
	v_fmac_f32_e32 v1, 0xbe903f40, v0
	v_sub_f32_e32 v0, v2, v4
	v_fmamk_f32 v2, v49, 0x3ed4b147, v50
	v_mul_f32_e32 v4, 0x3ed4b147, v3
	v_add_f32_e32 v41, v27, v41
	v_add_f32_e32 v30, v26, v30
	;; [unrolled: 1-line block ×18, first 2 shown]
	v_fmamk_f32 v26, v0, 0x3f68dda4, v4
	v_mul_f32_e32 v27, 0xbf4178ce, v47
	v_fma_f32 v28, 0x3ed4b147, v49, -v50
	v_fmac_f32_e32 v4, 0xbf68dda4, v0
	v_mul_f32_e32 v40, 0xbf27a4f4, v3
	v_add_f32_e32 v26, v26, v41
	v_fmamk_f32 v41, v49, 0xbf27a4f4, v27
	v_add_f32_e32 v28, v28, v30
	v_add_f32_e32 v4, v4, v31
	v_fmamk_f32 v30, v0, 0x3f4178ce, v40
	v_mul_f32_e32 v31, 0x3e903f40, v47
	v_add_f32_e32 v41, v41, v42
	v_fma_f32 v27, 0xbf27a4f4, v49, -v27
	v_fmac_f32_e32 v40, 0xbf4178ce, v0
	v_add_f32_e32 v30, v30, v43
	v_fmamk_f32 v42, v49, 0xbf75a155, v31
	v_mul_f32_e32 v43, 0xbf75a155, v3
	v_add_f32_e32 v27, v27, v32
	v_add_f32_e32 v32, v40, v33
	v_mul_f32_e32 v33, 0x3f7d64f0, v47
	v_add_f32_e32 v40, v42, v44
	v_fmamk_f32 v42, v0, 0xbe903f40, v43
	v_fma_f32 v31, 0xbf75a155, v49, -v31
	v_fmac_f32_e32 v43, 0x3e903f40, v0
	v_mul_f32_e32 v48, 0xbe11bafb, v3
	v_fmamk_f32 v44, v49, 0xbe11bafb, v33
	v_mul_f32_e32 v3, 0x3f575c64, v3
	v_add_f32_e32 v31, v31, v34
	v_add_f32_e32 v34, v43, v35
	v_fmamk_f32 v35, v0, 0xbf7d64f0, v48
	v_fma_f32 v33, 0xbe11bafb, v49, -v33
	v_fmac_f32_e32 v48, 0x3f7d64f0, v0
	v_add_f32_e32 v7, v44, v7
	v_mul_f32_e32 v43, 0x3f0a6770, v47
	v_fmamk_f32 v44, v0, 0xbf0a6770, v3
	v_add_f32_e32 v29, v33, v29
	v_add_f32_e32 v33, v48, v39
	v_sub_f32_e32 v39, v9, v25
	v_add_f32_e32 v9, v25, v9
	v_add_f32_e32 v35, v35, v38
	v_fmamk_f32 v38, v49, 0x3f575c64, v43
	v_add_f32_e32 v6, v44, v6
	v_add_f32_e32 v44, v24, v8
	v_mul_f32_e32 v25, 0xbf7d64f0, v39
	v_fma_f32 v43, 0x3f575c64, v49, -v43
	v_fmac_f32_e32 v3, 0x3f0a6770, v0
	v_sub_f32_e32 v0, v8, v24
	v_mul_f32_e32 v8, 0xbe11bafb, v9
	v_fmamk_f32 v24, v44, 0xbe11bafb, v25
	v_add_f32_e32 v5, v43, v5
	v_add_f32_e32 v1, v3, v1
	v_mul_f32_e32 v3, 0x3e903f40, v39
	v_fmamk_f32 v43, v0, 0x3f7d64f0, v8
	v_add_f32_e32 v2, v24, v2
	v_fma_f32 v24, 0xbe11bafb, v44, -v25
	v_fmac_f32_e32 v8, 0xbf7d64f0, v0
	v_fmamk_f32 v25, v44, 0xbf75a155, v3
	v_add_f32_e32 v26, v43, v26
	v_mul_f32_e32 v43, 0xbf75a155, v9
	v_add_f32_e32 v24, v24, v28
	v_add_f32_e32 v4, v8, v4
	;; [unrolled: 1-line block ×3, first 2 shown]
	v_mul_f32_e32 v41, 0x3ed4b147, v9
	v_fmamk_f32 v28, v0, 0xbe903f40, v43
	v_add_f32_e32 v42, v42, v45
	v_mul_f32_e32 v25, 0x3f68dda4, v39
	v_fma_f32 v3, 0xbf75a155, v44, -v3
	v_fmac_f32_e32 v43, 0x3e903f40, v0
	v_add_f32_e32 v28, v28, v30
	v_fmamk_f32 v30, v0, 0xbf68dda4, v41
	v_fmamk_f32 v45, v44, 0x3ed4b147, v25
	v_fma_f32 v25, 0x3ed4b147, v44, -v25
	v_fmac_f32_e32 v41, 0x3f68dda4, v0
	v_add_f32_e32 v3, v3, v27
	v_add_f32_e32 v30, v30, v42
	v_mul_f32_e32 v42, 0x3f575c64, v9
	v_add_f32_e32 v27, v43, v32
	v_add_f32_e32 v32, v45, v40
	v_mul_f32_e32 v40, 0xbf0a6770, v39
	;; [unrolled: 3-line block ×3, first 2 shown]
	v_fmamk_f32 v39, v0, 0x3f0a6770, v42
	v_add_f32_e32 v38, v38, v46
	v_fmamk_f32 v43, v44, 0x3f575c64, v40
	v_fma_f32 v40, 0x3f575c64, v44, -v40
	v_fmamk_f32 v41, v44, 0xbf27a4f4, v34
	v_add_f32_e32 v35, v39, v35
	v_mul_f32_e32 v9, 0xbf27a4f4, v9
	v_sub_f32_e32 v39, v11, v23
	v_add_f32_e32 v11, v23, v11
	v_fmac_f32_e32 v42, 0xbf0a6770, v0
	v_add_f32_e32 v29, v40, v29
	v_add_f32_e32 v38, v41, v38
	v_fmamk_f32 v40, v0, 0x3f4178ce, v9
	v_fma_f32 v34, 0xbf27a4f4, v44, -v34
	v_add_f32_e32 v23, v22, v10
	v_mul_f32_e32 v41, 0xbf4178ce, v39
	v_fmac_f32_e32 v9, 0xbf4178ce, v0
	v_sub_f32_e32 v0, v10, v22
	v_mul_f32_e32 v10, 0xbf27a4f4, v11
	v_add_f32_e32 v5, v34, v5
	v_fmamk_f32 v22, v23, 0xbf27a4f4, v41
	v_add_f32_e32 v1, v9, v1
	v_mul_f32_e32 v34, 0x3f7d64f0, v39
	v_fmamk_f32 v9, v0, 0x3f4178ce, v10
	v_add_f32_e32 v6, v40, v6
	v_add_f32_e32 v2, v22, v2
	v_fma_f32 v22, 0xbf27a4f4, v23, -v41
	v_fmac_f32_e32 v10, 0xbf4178ce, v0
	v_add_f32_e32 v9, v9, v26
	v_fmamk_f32 v26, v23, 0xbe11bafb, v34
	v_mul_f32_e32 v40, 0xbe11bafb, v11
	v_add_f32_e32 v24, v22, v24
	v_add_f32_e32 v4, v10, v4
	v_mul_f32_e32 v10, 0xbf0a6770, v39
	v_add_f32_e32 v8, v26, v8
	v_fmamk_f32 v22, v0, 0xbf7d64f0, v40
	v_fma_f32 v26, 0xbe11bafb, v23, -v34
	v_mul_f32_e32 v41, 0x3f575c64, v11
	v_add_f32_e32 v33, v42, v33
	v_fmamk_f32 v34, v23, 0x3f575c64, v10
	v_add_f32_e32 v42, v22, v28
	v_add_f32_e32 v26, v26, v3
	v_fmamk_f32 v3, v0, 0x3f0a6770, v41
	v_mul_f32_e32 v22, 0xbe903f40, v39
	v_add_f32_e32 v7, v43, v7
	v_fmac_f32_e32 v40, 0x3f7d64f0, v0
	v_add_f32_e32 v32, v34, v32
	v_fma_f32 v10, 0x3f575c64, v23, -v10
	v_fmac_f32_e32 v41, 0xbf0a6770, v0
	v_mul_f32_e32 v28, 0xbf75a155, v11
	v_add_f32_e32 v30, v3, v30
	v_fmamk_f32 v3, v23, 0xbf75a155, v22
	v_mul_f32_e32 v34, 0x3f68dda4, v39
	v_sub_f32_e32 v39, v19, v21
	v_add_f32_e32 v27, v40, v27
	v_add_f32_e32 v10, v10, v25
	;; [unrolled: 1-line block ×3, first 2 shown]
	v_fmamk_f32 v31, v0, 0x3e903f40, v28
	v_add_f32_e32 v7, v3, v7
	v_fma_f32 v3, 0xbf75a155, v23, -v22
	v_mul_f32_e32 v11, 0x3ed4b147, v11
	v_add_f32_e32 v40, v20, v18
	v_add_f32_e32 v41, v21, v19
	v_mul_f32_e32 v19, 0xbe903f40, v39
	v_fmac_f32_e32 v28, 0xbe903f40, v0
	v_add_f32_e32 v31, v31, v35
	v_fmamk_f32 v22, v23, 0x3ed4b147, v34
	v_add_f32_e32 v35, v3, v29
	v_fmamk_f32 v3, v0, 0xbf68dda4, v11
	v_fma_f32 v21, 0x3ed4b147, v23, -v34
	v_fmac_f32_e32 v11, 0x3f68dda4, v0
	v_sub_f32_e32 v34, v18, v20
	v_mul_f32_e32 v0, 0xbf75a155, v41
	v_fmamk_f32 v18, v40, 0xbf75a155, v19
	v_add_f32_e32 v38, v22, v38
	v_add_f32_e32 v11, v11, v1
	v_add_f32_e32 v33, v28, v33
	v_fmamk_f32 v1, v34, 0x3e903f40, v0
	v_add_f32_e32 v22, v18, v2
	v_mul_f32_e32 v18, 0x3f0a6770, v39
	v_fmac_f32_e32 v0, 0xbe903f40, v34
	v_add_f32_e32 v6, v3, v6
	v_add_f32_e32 v23, v1, v9
	v_mul_f32_e32 v1, 0x3f575c64, v41
	v_fmamk_f32 v9, v40, 0x3f575c64, v18
	v_add_f32_e32 v3, v0, v4
	v_mul_f32_e32 v4, 0xbf4178ce, v39
	v_fma_f32 v2, 0xbf75a155, v40, -v19
	v_fmamk_f32 v0, v34, 0xbf0a6770, v1
	v_add_f32_e32 v28, v9, v8
	v_fma_f32 v8, 0x3f575c64, v40, -v18
	v_fmamk_f32 v9, v40, 0xbf27a4f4, v4
	v_add_f32_e32 v2, v2, v24
	v_fmac_f32_e32 v1, 0x3f0a6770, v34
	v_add_f32_e32 v29, v0, v42
	v_add_f32_e32 v20, v8, v26
	v_mul_f32_e32 v8, 0x3f68dda4, v39
	v_mul_f32_e32 v19, 0xbf27a4f4, v41
	v_add_f32_e32 v0, v9, v32
	v_fma_f32 v4, 0xbf27a4f4, v40, -v4
	v_mul_f32_e32 v9, 0x3ed4b147, v41
	v_fmamk_f32 v24, v40, 0x3ed4b147, v8
	v_add_f32_e32 v5, v21, v5
	v_add_f32_e32 v21, v1, v27
	v_fmamk_f32 v1, v34, 0x3f4178ce, v19
	v_fmac_f32_e32 v19, 0xbf4178ce, v34
	v_add_f32_e32 v18, v4, v10
	v_fmamk_f32 v4, v34, 0xbf68dda4, v9
	v_add_f32_e32 v24, v24, v7
	v_fma_f32 v7, 0x3ed4b147, v40, -v8
	v_mul_f32_e32 v8, 0xbf7d64f0, v39
	v_mul_f32_e32 v10, 0xbe11bafb, v41
	v_add_f32_e32 v19, v19, v25
	v_add_f32_e32 v25, v4, v31
	v_fmac_f32_e32 v9, 0x3f68dda4, v34
	v_add_f32_e32 v26, v7, v35
	v_fmamk_f32 v4, v40, 0xbe11bafb, v8
	v_fmamk_f32 v7, v34, 0x3f7d64f0, v10
	v_fma_f32 v8, 0xbe11bafb, v40, -v8
	v_fmac_f32_e32 v10, 0xbf7d64f0, v34
	v_add_f32_e32 v1, v1, v30
	v_add_f32_e32 v27, v9, v33
	v_add_f32_e32 v32, v4, v38
	v_add_f32_e32 v33, v7, v6
	v_add_f32_e32 v34, v8, v5
	v_mad_u32_u24 v4, 0x50, v12, v13
	v_add_f32_e32 v35, v10, v11
	ds_write2_b64 v4, v[16:17], v[22:23] offset1:1
	ds_write2_b64 v4, v[28:29], v[0:1] offset0:2 offset1:3
	ds_write2_b64 v4, v[24:25], v[32:33] offset0:4 offset1:5
	;; [unrolled: 1-line block ×4, first 2 shown]
	ds_write_b64 v4, v[2:3] offset:80
	s_waitcnt lgkmcnt(0)
	s_barrier
	buffer_gl0_inv
                                        ; implicit-def: $vgpr5
                                        ; implicit-def: $vgpr9
                                        ; implicit-def: $vgpr31
	s_and_saveexec_b32 s1, s0
	s_cbranch_execz .LBB0_21
; %bb.20:
	ds_read2_b64 v[22:25], v13 offset0:77 offset1:88
	ds_read2_b64 v[0:3], v13 offset0:99 offset1:110
	;; [unrolled: 1-line block ×7, first 2 shown]
	ds_read_b64 v[16:17], v37
	ds_read_b64 v[30:31], v13 offset:1320
	s_waitcnt lgkmcnt(8)
	v_mov_b32_e32 v19, v25
	v_mov_b32_e32 v18, v24
	s_waitcnt lgkmcnt(7)
	v_mov_b32_e32 v21, v1
	v_mov_b32_e32 v20, v0
	v_mov_b32_e32 v27, v23
	v_mov_b32_e32 v26, v22
	s_waitcnt lgkmcnt(5)
	v_mov_b32_e32 v25, v41
	v_mov_b32_e32 v24, v40
	v_mov_b32_e32 v1, v39
	v_mov_b32_e32 v0, v38
	s_waitcnt lgkmcnt(4)
	v_mov_b32_e32 v29, v45
	v_mov_b32_e32 v28, v44
	v_mov_b32_e32 v23, v43
	v_mov_b32_e32 v22, v42
.LBB0_21:
	s_or_b32 exec_lo, exec_lo, s1
	s_waitcnt lgkmcnt(0)
	s_barrier
	buffer_gl0_inv
	s_and_saveexec_b32 s1, s0
	s_cbranch_execz .LBB0_23
; %bb.22:
	v_add_nc_u32_e32 v38, -11, v12
	v_mov_b32_e32 v39, 0
	v_cndmask_b32_e64 v38, v38, v12, s0
	v_mul_i32_i24_e32 v38, 15, v38
	v_lshlrev_b64 v[38:39], 3, v[38:39]
	v_add_co_u32 v50, s0, s8, v38
	v_add_co_ci_u32_e64 v51, s0, s9, v39, s0
	s_clause 0x3
	global_load_dwordx4 v[38:41], v[50:51], off offset:96
	global_load_dwordx4 v[42:45], v[50:51], off offset:32
	global_load_dwordx4 v[46:49], v[50:51], off
	global_load_dwordx2 v[52:53], v[50:51], off offset:112
	s_waitcnt vmcnt(3)
	v_mul_f32_e32 v55, v9, v39
	v_mul_f32_e32 v39, v8, v39
	s_waitcnt vmcnt(2)
	v_mul_f32_e32 v59, v33, v43
	v_mul_f32_e32 v58, v35, v45
	;; [unrolled: 1-line block ×3, first 2 shown]
	v_fmac_f32_e32 v55, v8, v38
	v_fma_f32 v57, v9, v38, -v39
	v_mul_f32_e32 v38, v34, v45
	v_fmac_f32_e32 v59, v32, v42
	s_waitcnt vmcnt(1)
	v_mul_f32_e32 v32, v28, v49
	v_fmac_f32_e32 v58, v34, v44
	v_fma_f32 v61, v33, v42, -v43
	v_fma_f32 v60, v35, v44, -v38
	v_mul_f32_e32 v49, v29, v49
	v_fma_f32 v29, v29, v48, -v32
	s_clause 0x1
	global_load_dwordx4 v[32:35], v[50:51], off offset:64
	global_load_dwordx4 v[42:45], v[50:51], off offset:80
	v_mul_f32_e32 v54, v11, v41
	v_mul_f32_e32 v41, v10, v41
	v_fmac_f32_e32 v49, v28, v48
	v_mul_f32_e32 v28, v22, v47
	v_mul_f32_e32 v47, v23, v47
	v_fmac_f32_e32 v54, v10, v40
	v_fma_f32 v56, v11, v40, -v41
	s_clause 0x1
	global_load_dwordx4 v[8:11], v[50:51], off offset:48
	global_load_dwordx4 v[38:41], v[50:51], off offset:16
	v_fma_f32 v23, v23, v46, -v28
	v_fmac_f32_e32 v47, v22, v46
	s_waitcnt vmcnt(3)
	v_mul_f32_e32 v28, v3, v35
	v_mul_f32_e32 v22, v2, v35
	;; [unrolled: 1-line block ×3, first 2 shown]
	v_fmac_f32_e32 v28, v2, v34
	v_mul_f32_e32 v2, v21, v33
	v_fma_f32 v21, v21, v32, -v46
	v_mul_f32_e32 v46, v30, v53
	s_waitcnt vmcnt(1)
	v_mul_f32_e32 v35, v18, v11
	v_fma_f32 v3, v3, v34, -v22
	v_fmac_f32_e32 v2, v20, v32
	v_mul_f32_e32 v32, v31, v53
	s_waitcnt vmcnt(0)
	v_mul_f32_e32 v22, v25, v41
	v_mul_f32_e32 v33, v7, v45
	;; [unrolled: 1-line block ×7, first 2 shown]
	v_fmac_f32_e32 v32, v30, v52
	v_fma_f32 v30, v31, v52, -v46
	v_mul_f32_e32 v31, v5, v43
	v_mul_f32_e32 v41, v24, v41
	;; [unrolled: 1-line block ×4, first 2 shown]
	v_fma_f32 v19, v19, v10, -v35
	v_fmac_f32_e32 v22, v24, v40
	v_fmac_f32_e32 v33, v6, v44
	v_fma_f32 v1, v1, v38, -v34
	v_fma_f32 v5, v5, v42, -v20
	v_fmac_f32_e32 v48, v26, v8
	v_fma_f32 v6, v27, v8, -v9
	v_fmac_f32_e32 v39, v0, v38
	v_fmac_f32_e32 v31, v4, v42
	v_fma_f32 v0, v25, v40, -v41
	v_fma_f32 v4, v7, v44, -v43
	v_fmac_f32_e32 v11, v18, v10
	v_sub_f32_e32 v3, v29, v3
	v_sub_f32_e32 v7, v58, v54
	;; [unrolled: 1-line block ×18, first 2 shown]
	v_add_f32_e32 v30, v18, v10
	v_sub_f32_e32 v31, v5, v19
	v_sub_f32_e32 v32, v20, v21
	v_add_f32_e32 v33, v25, v24
	v_add_f32_e32 v34, v2, v26
	;; [unrolled: 1-line block ×3, first 2 shown]
	v_fma_f32 v17, v17, 2.0, -v8
	v_fma_f32 v0, v0, 2.0, -v4
	;; [unrolled: 1-line block ×16, first 2 shown]
	v_fmamk_f32 v22, v27, 0x3f3504f3, v28
	v_fmamk_f32 v39, v31, 0x3f3504f3, v32
	;; [unrolled: 1-line block ×4, first 2 shown]
	v_sub_f32_e32 v42, v17, v0
	v_sub_f32_e32 v0, v4, v7
	;; [unrolled: 1-line block ×3, first 2 shown]
	v_fma_f32 v26, v8, 2.0, -v28
	v_fma_f32 v8, v3, 2.0, -v27
	;; [unrolled: 1-line block ×8, first 2 shown]
	v_sub_f32_e32 v19, v38, v19
	v_sub_f32_e32 v6, v1, v6
	;; [unrolled: 1-line block ×5, first 2 shown]
	v_fmac_f32_e32 v22, 0xbf3504f3, v30
	v_fmac_f32_e32 v39, 0xbf3504f3, v33
	;; [unrolled: 1-line block ×4, first 2 shown]
	v_fmamk_f32 v33, v8, 0xbf3504f3, v26
	v_fmamk_f32 v45, v5, 0xbf3504f3, v20
	;; [unrolled: 1-line block ×4, first 2 shown]
	v_sub_f32_e32 v11, v7, v19
	v_add_f32_e32 v30, v21, v6
	v_add_f32_e32 v31, v9, v10
	v_fma_f32 v17, v17, 2.0, -v42
	v_fma_f32 v10, v29, 2.0, -v10
	;; [unrolled: 1-line block ×8, first 2 shown]
	v_sub_f32_e32 v27, v42, v0
	v_fmamk_f32 v1, v39, 0x3f6c835e, v22
	v_fmamk_f32 v0, v40, 0x3f6c835e, v41
	v_fmac_f32_e32 v33, 0xbf3504f3, v18
	v_fmac_f32_e32 v45, 0xbf3504f3, v25
	;; [unrolled: 1-line block ×4, first 2 shown]
	v_sub_f32_e32 v25, v17, v10
	v_sub_f32_e32 v18, v24, v19
	;; [unrolled: 1-line block ×4, first 2 shown]
	v_fma_f32 v28, v28, 2.0, -v22
	v_fma_f32 v32, v32, 2.0, -v39
	;; [unrolled: 1-line block ×4, first 2 shown]
	v_fmamk_f32 v2, v30, 0x3f3504f3, v31
	v_fma_f32 v38, v42, 2.0, -v27
	v_fma_f32 v42, v7, 2.0, -v11
	;; [unrolled: 1-line block ×4, first 2 shown]
	v_fmac_f32_e32 v1, 0xbec3ef15, v40
	v_fmac_f32_e32 v0, 0x3ec3ef15, v39
	v_fma_f32 v39, v26, 2.0, -v33
	v_fma_f32 v40, v20, 2.0, -v45
	;; [unrolled: 1-line block ×4, first 2 shown]
	v_fmamk_f32 v3, v11, 0x3f3504f3, v27
	v_fmamk_f32 v5, v45, 0x3ec3ef15, v33
	v_sub_f32_e32 v7, v25, v18
	v_fma_f32 v50, v17, 2.0, -v25
	v_fma_f32 v26, v23, 2.0, -v19
	;; [unrolled: 1-line block ×4, first 2 shown]
	v_fmamk_f32 v9, v32, 0xbec3ef15, v28
	v_fmamk_f32 v8, v34, 0xbec3ef15, v35
	;; [unrolled: 1-line block ×3, first 2 shown]
	v_fmac_f32_e32 v2, 0x3f3504f3, v11
	v_fmamk_f32 v11, v42, 0xbf3504f3, v38
	v_fmamk_f32 v10, v48, 0xbf3504f3, v49
	v_fma_f32 v17, v22, 2.0, -v1
	v_fmamk_f32 v23, v40, 0xbf6c835e, v39
	v_fmamk_f32 v22, v43, 0xbf6c835e, v44
	v_fmac_f32_e32 v3, 0xbf3504f3, v30
	v_fmac_f32_e32 v5, 0xbf6c835e, v46
	v_fma_f32 v21, v25, 2.0, -v7
	v_sub_f32_e32 v25, v50, v26
	v_sub_f32_e32 v24, v51, v24
	v_add_f32_e32 v6, v29, v19
	v_fmac_f32_e32 v9, 0xbf6c835e, v34
	v_fmac_f32_e32 v8, 0x3f6c835e, v32
	;; [unrolled: 1-line block ×3, first 2 shown]
	v_fma_f32 v16, v41, 2.0, -v0
	v_fmac_f32_e32 v11, 0xbf3504f3, v48
	v_fmac_f32_e32 v10, 0x3f3504f3, v42
	;; [unrolled: 1-line block ×4, first 2 shown]
	v_fma_f32 v19, v27, 2.0, -v3
	v_fma_f32 v27, v33, 2.0, -v5
	;; [unrolled: 1-line block ×11, first 2 shown]
	ds_write2_b64 v13, v[16:17], v[24:25] offset0:77 offset1:88
	ds_write2_b64 v13, v[8:9], v[6:7] offset0:121 offset1:132
	;; [unrolled: 1-line block ×3, first 2 shown]
	v_fma_f32 v3, v39, 2.0, -v23
	v_fma_f32 v2, v44, 2.0, -v22
	ds_write_b64 v37, v[32:33]
	ds_write2_b64 v13, v[28:29], v[20:21] offset0:33 offset1:44
	ds_write2_b64 v13, v[26:27], v[18:19] offset0:55 offset1:66
	;; [unrolled: 1-line block ×4, first 2 shown]
	ds_write_b64 v13, v[0:1] offset:1320
.LBB0_23:
	s_or_b32 exec_lo, exec_lo, s1
	s_waitcnt lgkmcnt(0)
	s_barrier
	buffer_gl0_inv
	s_and_saveexec_b32 s0, vcc_lo
	s_cbranch_execz .LBB0_25
; %bb.24:
	v_lshl_add_u32 v18, v12, 3, v36
	v_mov_b32_e32 v13, 0
	v_add_nc_u32_e32 v8, 16, v12
	v_add_co_u32 v20, vcc_lo, s2, v14
	ds_read2_b64 v[0:3], v18 offset1:16
	v_mov_b32_e32 v9, v13
	v_lshlrev_b64 v[16:17], 3, v[12:13]
	ds_read2_b64 v[4:7], v18 offset0:32 offset1:48
	v_add_nc_u32_e32 v10, 32, v12
	v_mov_b32_e32 v11, v13
	v_add_co_ci_u32_e32 v21, vcc_lo, s3, v15, vcc_lo
	v_lshlrev_b64 v[8:9], 3, v[8:9]
	v_add_co_u32 v14, vcc_lo, v20, v16
	v_lshlrev_b64 v[10:11], 3, v[10:11]
	v_add_co_ci_u32_e32 v15, vcc_lo, v21, v17, vcc_lo
	v_add_co_u32 v8, vcc_lo, v20, v8
	v_add_co_ci_u32_e32 v9, vcc_lo, v21, v9, vcc_lo
	v_add_nc_u32_e32 v16, 0x90, v12
	v_mov_b32_e32 v17, v13
	s_waitcnt lgkmcnt(1)
	global_store_dwordx2 v[14:15], v[0:1], off
	v_add_co_u32 v0, vcc_lo, v20, v10
	v_add_co_ci_u32_e32 v1, vcc_lo, v21, v11, vcc_lo
	v_add_nc_u32_e32 v10, 48, v12
	v_mov_b32_e32 v11, v13
	global_store_dwordx2 v[8:9], v[2:3], off
	s_waitcnt lgkmcnt(0)
	global_store_dwordx2 v[0:1], v[4:5], off
	v_add_nc_u32_e32 v14, 64, v12
	v_mov_b32_e32 v15, v13
	ds_read2_b64 v[0:3], v18 offset0:64 offset1:80
	v_lshlrev_b64 v[4:5], 3, v[10:11]
	v_add_nc_u32_e32 v10, 0x50, v12
	v_lshlrev_b64 v[16:17], 3, v[16:17]
	v_lshlrev_b64 v[8:9], 3, v[14:15]
	v_add_nc_u32_e32 v14, 0x60, v12
	v_add_co_u32 v4, vcc_lo, v20, v4
	v_lshlrev_b64 v[10:11], 3, v[10:11]
	v_add_co_ci_u32_e32 v5, vcc_lo, v21, v5, vcc_lo
	v_add_co_u32 v8, vcc_lo, v20, v8
	v_add_co_ci_u32_e32 v9, vcc_lo, v21, v9, vcc_lo
	v_add_co_u32 v10, vcc_lo, v20, v10
	v_add_co_ci_u32_e32 v11, vcc_lo, v21, v11, vcc_lo
	global_store_dwordx2 v[4:5], v[6:7], off
	s_waitcnt lgkmcnt(0)
	global_store_dwordx2 v[8:9], v[0:1], off
	global_store_dwordx2 v[10:11], v[2:3], off
	v_lshlrev_b64 v[4:5], 3, v[14:15]
	v_add_nc_u32_e32 v6, 0x70, v12
	v_mov_b32_e32 v7, v13
	ds_read2_b64 v[0:3], v18 offset0:96 offset1:112
	v_add_nc_u32_e32 v8, 0x80, v12
	v_mov_b32_e32 v9, v13
	v_add_co_u32 v10, vcc_lo, v20, v4
	v_add_co_ci_u32_e32 v11, vcc_lo, v21, v5, vcc_lo
	v_lshlrev_b64 v[14:15], 3, v[6:7]
	ds_read2_b64 v[4:7], v18 offset0:128 offset1:144
	ds_read_b64 v[18:19], v18 offset:1280
	v_lshlrev_b64 v[8:9], 3, v[8:9]
	v_add_nc_u32_e32 v12, 0xa0, v12
	v_add_co_u32 v14, vcc_lo, v20, v14
	v_add_co_ci_u32_e32 v15, vcc_lo, v21, v15, vcc_lo
	v_add_co_u32 v8, vcc_lo, v20, v8
	v_lshlrev_b64 v[12:13], 3, v[12:13]
	v_add_co_ci_u32_e32 v9, vcc_lo, v21, v9, vcc_lo
	v_add_co_u32 v16, vcc_lo, v20, v16
	v_add_co_ci_u32_e32 v17, vcc_lo, v21, v17, vcc_lo
	v_add_co_u32 v12, vcc_lo, v20, v12
	v_add_co_ci_u32_e32 v13, vcc_lo, v21, v13, vcc_lo
	s_waitcnt lgkmcnt(2)
	global_store_dwordx2 v[10:11], v[0:1], off
	global_store_dwordx2 v[14:15], v[2:3], off
	s_waitcnt lgkmcnt(1)
	global_store_dwordx2 v[8:9], v[4:5], off
	global_store_dwordx2 v[16:17], v[6:7], off
	s_waitcnt lgkmcnt(0)
	global_store_dwordx2 v[12:13], v[18:19], off
.LBB0_25:
	s_endpgm
	.section	.rodata,"a",@progbits
	.p2align	6, 0x0
	.amdhsa_kernel fft_rtc_back_len176_factors_11_16_wgs_64_tpt_16_halfLds_sp_ip_CI_unitstride_sbrr_C2R_dirReg
		.amdhsa_group_segment_fixed_size 0
		.amdhsa_private_segment_fixed_size 0
		.amdhsa_kernarg_size 88
		.amdhsa_user_sgpr_count 6
		.amdhsa_user_sgpr_private_segment_buffer 1
		.amdhsa_user_sgpr_dispatch_ptr 0
		.amdhsa_user_sgpr_queue_ptr 0
		.amdhsa_user_sgpr_kernarg_segment_ptr 1
		.amdhsa_user_sgpr_dispatch_id 0
		.amdhsa_user_sgpr_flat_scratch_init 0
		.amdhsa_user_sgpr_private_segment_size 0
		.amdhsa_wavefront_size32 1
		.amdhsa_uses_dynamic_stack 0
		.amdhsa_system_sgpr_private_segment_wavefront_offset 0
		.amdhsa_system_sgpr_workgroup_id_x 1
		.amdhsa_system_sgpr_workgroup_id_y 0
		.amdhsa_system_sgpr_workgroup_id_z 0
		.amdhsa_system_sgpr_workgroup_info 0
		.amdhsa_system_vgpr_workitem_id 0
		.amdhsa_next_free_vgpr 62
		.amdhsa_next_free_sgpr 21
		.amdhsa_reserve_vcc 1
		.amdhsa_reserve_flat_scratch 0
		.amdhsa_float_round_mode_32 0
		.amdhsa_float_round_mode_16_64 0
		.amdhsa_float_denorm_mode_32 3
		.amdhsa_float_denorm_mode_16_64 3
		.amdhsa_dx10_clamp 1
		.amdhsa_ieee_mode 1
		.amdhsa_fp16_overflow 0
		.amdhsa_workgroup_processor_mode 1
		.amdhsa_memory_ordered 1
		.amdhsa_forward_progress 0
		.amdhsa_shared_vgpr_count 0
		.amdhsa_exception_fp_ieee_invalid_op 0
		.amdhsa_exception_fp_denorm_src 0
		.amdhsa_exception_fp_ieee_div_zero 0
		.amdhsa_exception_fp_ieee_overflow 0
		.amdhsa_exception_fp_ieee_underflow 0
		.amdhsa_exception_fp_ieee_inexact 0
		.amdhsa_exception_int_div_zero 0
	.end_amdhsa_kernel
	.text
.Lfunc_end0:
	.size	fft_rtc_back_len176_factors_11_16_wgs_64_tpt_16_halfLds_sp_ip_CI_unitstride_sbrr_C2R_dirReg, .Lfunc_end0-fft_rtc_back_len176_factors_11_16_wgs_64_tpt_16_halfLds_sp_ip_CI_unitstride_sbrr_C2R_dirReg
                                        ; -- End function
	.section	.AMDGPU.csdata,"",@progbits
; Kernel info:
; codeLenInByte = 6572
; NumSgprs: 23
; NumVgprs: 62
; ScratchSize: 0
; MemoryBound: 0
; FloatMode: 240
; IeeeMode: 1
; LDSByteSize: 0 bytes/workgroup (compile time only)
; SGPRBlocks: 2
; VGPRBlocks: 7
; NumSGPRsForWavesPerEU: 23
; NumVGPRsForWavesPerEU: 62
; Occupancy: 16
; WaveLimiterHint : 1
; COMPUTE_PGM_RSRC2:SCRATCH_EN: 0
; COMPUTE_PGM_RSRC2:USER_SGPR: 6
; COMPUTE_PGM_RSRC2:TRAP_HANDLER: 0
; COMPUTE_PGM_RSRC2:TGID_X_EN: 1
; COMPUTE_PGM_RSRC2:TGID_Y_EN: 0
; COMPUTE_PGM_RSRC2:TGID_Z_EN: 0
; COMPUTE_PGM_RSRC2:TIDIG_COMP_CNT: 0
	.text
	.p2alignl 6, 3214868480
	.fill 48, 4, 3214868480
	.type	__hip_cuid_a0b72860904fea0b,@object ; @__hip_cuid_a0b72860904fea0b
	.section	.bss,"aw",@nobits
	.globl	__hip_cuid_a0b72860904fea0b
__hip_cuid_a0b72860904fea0b:
	.byte	0                               ; 0x0
	.size	__hip_cuid_a0b72860904fea0b, 1

	.ident	"AMD clang version 19.0.0git (https://github.com/RadeonOpenCompute/llvm-project roc-6.4.0 25133 c7fe45cf4b819c5991fe208aaa96edf142730f1d)"
	.section	".note.GNU-stack","",@progbits
	.addrsig
	.addrsig_sym __hip_cuid_a0b72860904fea0b
	.amdgpu_metadata
---
amdhsa.kernels:
  - .args:
      - .actual_access:  read_only
        .address_space:  global
        .offset:         0
        .size:           8
        .value_kind:     global_buffer
      - .offset:         8
        .size:           8
        .value_kind:     by_value
      - .actual_access:  read_only
        .address_space:  global
        .offset:         16
        .size:           8
        .value_kind:     global_buffer
      - .actual_access:  read_only
        .address_space:  global
        .offset:         24
        .size:           8
        .value_kind:     global_buffer
      - .offset:         32
        .size:           8
        .value_kind:     by_value
      - .actual_access:  read_only
        .address_space:  global
        .offset:         40
        .size:           8
        .value_kind:     global_buffer
      - .actual_access:  read_only
        .address_space:  global
        .offset:         48
        .size:           8
        .value_kind:     global_buffer
      - .offset:         56
        .size:           4
        .value_kind:     by_value
      - .actual_access:  read_only
        .address_space:  global
        .offset:         64
        .size:           8
        .value_kind:     global_buffer
      - .actual_access:  read_only
        .address_space:  global
        .offset:         72
        .size:           8
        .value_kind:     global_buffer
      - .address_space:  global
        .offset:         80
        .size:           8
        .value_kind:     global_buffer
    .group_segment_fixed_size: 0
    .kernarg_segment_align: 8
    .kernarg_segment_size: 88
    .language:       OpenCL C
    .language_version:
      - 2
      - 0
    .max_flat_workgroup_size: 64
    .name:           fft_rtc_back_len176_factors_11_16_wgs_64_tpt_16_halfLds_sp_ip_CI_unitstride_sbrr_C2R_dirReg
    .private_segment_fixed_size: 0
    .sgpr_count:     23
    .sgpr_spill_count: 0
    .symbol:         fft_rtc_back_len176_factors_11_16_wgs_64_tpt_16_halfLds_sp_ip_CI_unitstride_sbrr_C2R_dirReg.kd
    .uniform_work_group_size: 1
    .uses_dynamic_stack: false
    .vgpr_count:     62
    .vgpr_spill_count: 0
    .wavefront_size: 32
    .workgroup_processor_mode: 1
amdhsa.target:   amdgcn-amd-amdhsa--gfx1030
amdhsa.version:
  - 1
  - 2
...

	.end_amdgpu_metadata
